;; amdgpu-corpus repo=zjin-lcf/HeCBench kind=compiled arch=gfx1250 opt=O3
	.amdgcn_target "amdgcn-amd-amdhsa--gfx1250"
	.amdhsa_code_object_version 6
	.text
	.protected	_Z15getOutValOptionPK17optionInputStructPfi ; -- Begin function _Z15getOutValOptionPK17optionInputStructPfi
	.globl	_Z15getOutValOptionPK17optionInputStructPfi
	.p2align	8
	.type	_Z15getOutValOptionPK17optionInputStructPfi,@function
_Z15getOutValOptionPK17optionInputStructPfi: ; @_Z15getOutValOptionPK17optionInputStructPfi
; %bb.0:
	s_clause 0x1
	s_load_b32 s2, s[0:1], 0x24
	s_load_b32 s3, s[0:1], 0x10
	s_bfe_u32 s4, ttmp6, 0x4000c
	s_and_b32 s5, ttmp6, 15
	s_add_co_i32 s4, s4, 1
	s_getreg_b32 s6, hwreg(HW_REG_IB_STS2, 6, 4)
	s_mul_i32 s4, ttmp9, s4
	s_delay_alu instid0(SALU_CYCLE_1) | instskip(SKIP_4) | instid1(SALU_CYCLE_1)
	s_add_co_i32 s5, s5, s4
	s_wait_kmcnt 0x0
	s_and_b32 s2, s2, 0xffff
	s_cmp_eq_u32 s6, 0
	s_cselect_b32 s4, ttmp9, s5
	v_mad_u32 v8, s4, s2, v0
	s_mov_b32 s2, exec_lo
	s_delay_alu instid0(VALU_DEP_1)
	v_cmpx_gt_i32_e64 s3, v8
	s_cbranch_execz .LBB0_74
; %bb.1:
	s_load_b128 s[0:3], s[0:1], 0x0
	s_wait_kmcnt 0x0
	v_mad_nc_i64_i32 v[10:11], v8, 36, s[0:1]
	s_clause 0x1
	global_load_b96 v[4:6], v[10:11], off offset:16
	global_load_b128 v[0:3], v[10:11], off
	s_wait_loadcnt 0x0
	v_dual_mul_f32 v6, v6, v6 :: v_dual_mul_f32 v3, v3, v5
	s_delay_alu instid0(VALU_DEP_1) | instskip(NEXT) | instid1(VALU_DEP_2)
	v_dual_mul_f32 v4, v4, v5 :: v_dual_mul_f32 v5, v5, v6
	v_mul_f32_e32 v7, 0x3fb8aa3b, v3
	s_delay_alu instid0(VALU_DEP_2) | instskip(SKIP_1) | instid1(VALU_DEP_3)
	v_mul_f32_e32 v9, 0x3fb8aa3b, v4
	v_cmp_ngt_f32_e32 vcc_lo, 0xc2ce8ed0, v3
	v_fma_f32 v10, 0x3fb8aa3b, v3, -v7
	v_rndne_f32_e32 v11, v7
	s_delay_alu instid0(VALU_DEP_4) | instskip(SKIP_1) | instid1(VALU_DEP_4)
	v_fma_f32 v12, 0x3fb8aa3b, v4, -v9
	v_rndne_f32_e32 v13, v9
	v_fmac_f32_e32 v10, 0x32a5705f, v3
	s_delay_alu instid0(VALU_DEP_3) | instskip(NEXT) | instid1(VALU_DEP_1)
	v_dual_sub_f32 v7, v7, v11 :: v_dual_fmac_f32 v12, 0x32a5705f, v4
	v_dual_sub_f32 v9, v9, v13 :: v_dual_add_f32 v7, v7, v10
	v_cvt_i32_f32_e32 v10, v11
	s_delay_alu instid0(VALU_DEP_2) | instskip(SKIP_1) | instid1(VALU_DEP_4)
	v_add_f32_e32 v9, v9, v12
	v_cvt_i32_f32_e32 v11, v13
	v_exp_f32_e32 v7, v7
	s_delay_alu instid0(VALU_DEP_2) | instskip(NEXT) | instid1(TRANS32_DEP_2)
	v_exp_f32_e32 v9, v9
	v_ldexp_f32 v7, v7, v10
	s_delay_alu instid0(TRANS32_DEP_1) | instskip(NEXT) | instid1(VALU_DEP_2)
	v_ldexp_f32 v9, v9, v11
	v_cndmask_b32_e32 v7, 0, v7, vcc_lo
	v_cmp_ngt_f32_e32 vcc_lo, 0xc2ce8ed0, v4
	s_delay_alu instid0(VALU_DEP_3) | instskip(SKIP_1) | instid1(VALU_DEP_4)
	v_cndmask_b32_e32 v9, 0, v9, vcc_lo
	v_cmp_nlt_f32_e32 vcc_lo, 0x42b17218, v3
	v_cndmask_b32_e32 v3, 0x7f800000, v7, vcc_lo
	v_cmp_nlt_f32_e32 vcc_lo, 0x42b17218, v4
	s_delay_alu instid0(VALU_DEP_2) | instskip(SKIP_2) | instid1(VALU_DEP_3)
	v_div_scale_f32 v7, null, v3, v3, 1.0
	v_cndmask_b32_e32 v4, 0x7f800000, v9, vcc_lo
	v_div_scale_f32 v14, vcc_lo, 1.0, v3, 1.0
	v_rcp_f32_e32 v10, v7
	s_delay_alu instid0(VALU_DEP_2) | instskip(NEXT) | instid1(VALU_DEP_1)
	v_div_scale_f32 v9, null, v4, v4, 1.0
	v_rcp_f32_e32 v11, v9
	s_delay_alu instid0(TRANS32_DEP_2) | instskip(NEXT) | instid1(VALU_DEP_1)
	v_fma_f32 v12, -v7, v10, 1.0
	v_fmac_f32_e32 v10, v12, v10
	s_delay_alu instid0(TRANS32_DEP_1) | instskip(NEXT) | instid1(VALU_DEP_1)
	v_fma_f32 v13, -v9, v11, 1.0
	v_fmac_f32_e32 v11, v13, v11
	v_div_scale_f32 v12, s0, 1.0, v4, 1.0
	s_delay_alu instid0(VALU_DEP_1) | instskip(NEXT) | instid1(VALU_DEP_1)
	v_dual_mul_f32 v13, v14, v10 :: v_dual_mul_f32 v15, v12, v11
	v_dual_fma_f32 v16, -v7, v13, v14 :: v_dual_fma_f32 v17, -v9, v15, v12
	s_delay_alu instid0(VALU_DEP_1) | instskip(NEXT) | instid1(VALU_DEP_1)
	v_dual_fmac_f32 v13, v16, v10 :: v_dual_fmac_f32 v15, v17, v11
	v_dual_fma_f32 v7, -v7, v13, v14 :: v_dual_fma_f32 v9, -v9, v15, v12
	s_delay_alu instid0(VALU_DEP_1) | instskip(SKIP_1) | instid1(VALU_DEP_2)
	v_div_fmas_f32 v7, v7, v10, v13
	s_mov_b32 vcc_lo, s0
	v_div_fmas_f32 v9, v9, v11, v15
	s_delay_alu instid0(VALU_DEP_2) | instskip(NEXT) | instid1(VALU_DEP_2)
	v_div_fixup_f32 v3, v7, v3, 1.0
	v_div_fixup_f32 v7, v9, v4, 1.0
	s_delay_alu instid0(VALU_DEP_2) | instskip(NEXT) | instid1(VALU_DEP_1)
	v_mul_f32_e32 v2, v2, v3
	v_div_scale_f32 v3, null, v7, v7, v2
	v_div_scale_f32 v10, vcc_lo, v2, v7, v2
	s_delay_alu instid0(VALU_DEP_2) | instskip(SKIP_1) | instid1(TRANS32_DEP_1)
	v_rcp_f32_e32 v4, v3
	v_nop
	v_fma_f32 v9, -v3, v4, 1.0
	s_delay_alu instid0(VALU_DEP_1) | instskip(NEXT) | instid1(VALU_DEP_1)
	v_fmac_f32_e32 v4, v9, v4
	v_mul_f32_e32 v9, v10, v4
	s_delay_alu instid0(VALU_DEP_1) | instskip(NEXT) | instid1(VALU_DEP_1)
	v_fma_f32 v11, -v3, v9, v10
	v_fmac_f32_e32 v9, v11, v4
	s_delay_alu instid0(VALU_DEP_1) | instskip(NEXT) | instid1(VALU_DEP_1)
	v_fma_f32 v3, -v3, v9, v10
	v_div_fmas_f32 v3, v3, v4, v9
	s_delay_alu instid0(VALU_DEP_1) | instskip(NEXT) | instid1(VALU_DEP_1)
	v_div_fixup_f32 v2, v3, v7, v2
	v_div_scale_f32 v3, null, v1, v1, v2
	v_div_scale_f32 v10, vcc_lo, v2, v1, v2
	s_delay_alu instid0(VALU_DEP_2) | instskip(SKIP_1) | instid1(TRANS32_DEP_1)
	v_rcp_f32_e32 v4, v3
	v_nop
	v_fma_f32 v9, -v3, v4, 1.0
	s_delay_alu instid0(VALU_DEP_1) | instskip(NEXT) | instid1(VALU_DEP_1)
	v_fmac_f32_e32 v4, v9, v4
	v_mul_f32_e32 v9, v10, v4
	s_delay_alu instid0(VALU_DEP_1) | instskip(NEXT) | instid1(VALU_DEP_1)
	v_fma_f32 v11, -v3, v9, v10
	v_fmac_f32_e32 v9, v11, v4
	s_delay_alu instid0(VALU_DEP_1) | instskip(NEXT) | instid1(VALU_DEP_1)
	v_fma_f32 v3, -v3, v9, v10
	v_div_fmas_f32 v3, v3, v4, v9
	v_mul_f32_e32 v4, 0x4f800000, v5
	v_cmp_gt_f32_e32 vcc_lo, 0xf800000, v5
	s_delay_alu instid0(VALU_DEP_3) | instskip(NEXT) | instid1(VALU_DEP_3)
	v_div_fixup_f32 v3, v3, v1, v2
	v_cndmask_b32_e32 v4, v5, v4, vcc_lo
	s_delay_alu instid0(VALU_DEP_2) | instskip(NEXT) | instid1(VALU_DEP_2)
	v_cmp_gt_f32_e64 s0, 0x800000, v3
	v_sqrt_f32_e32 v6, v4
	s_delay_alu instid0(VALU_DEP_1) | instskip(NEXT) | instid1(VALU_DEP_1)
	v_cndmask_b32_e64 v5, 0, 32, s0
	v_ldexp_f32 v3, v3, v5
	s_delay_alu instid0(TRANS32_DEP_1) | instskip(NEXT) | instid1(VALU_DEP_2)
	v_dual_add_nc_u32 v5, -1, v6 :: v_dual_add_nc_u32 v9, 1, v6
	v_log_f32_e32 v3, v3
	s_delay_alu instid0(VALU_DEP_1) | instskip(NEXT) | instid1(VALU_DEP_1)
	v_fma_f32 v10, -v5, v6, v4
	v_cmp_ge_f32_e64 s1, 0, v10
	s_delay_alu instid0(VALU_DEP_1) | instskip(NEXT) | instid1(VALU_DEP_1)
	v_dual_fma_f32 v11, -v9, v6, v4 :: v_dual_cndmask_b32 v5, v6, v5, s1
	v_cmp_lt_f32_e64 s1, 0, v11
	s_delay_alu instid0(VALU_DEP_1) | instskip(NEXT) | instid1(VALU_DEP_1)
	v_cndmask_b32_e64 v5, v5, v9, s1
	v_mul_f32_e32 v9, 0x37800000, v5
	s_delay_alu instid0(VALU_DEP_1) | instskip(NEXT) | instid1(VALU_DEP_1)
	v_dual_mul_f32 v12, 0x3f317217, v3 :: v_dual_cndmask_b32 v5, v5, v9
	v_fma_f32 v6, 0x3f317217, v3, -v12
	v_cmp_gt_f32_e64 vcc_lo, 0x7f800000, |v3|
	v_cndmask_b32_e64 v9, 0, 0x41b17218, s0
	s_delay_alu instid0(VALU_DEP_3) | instskip(NEXT) | instid1(VALU_DEP_1)
	v_fmamk_f32 v6, v3, 0x3377d1cf, v6
	v_fmac_f32_e32 v6, 0x3f317217, v3
	s_delay_alu instid0(VALU_DEP_1) | instskip(SKIP_1) | instid1(VALU_DEP_2)
	v_cndmask_b32_e32 v6, v3, v6, vcc_lo
	v_cmp_class_f32_e64 vcc_lo, v4, 0x260
	v_dual_cndmask_b32 v3, v5, v4 :: v_dual_sub_f32 v4, v6, v9
	s_delay_alu instid0(VALU_DEP_1) | instskip(NEXT) | instid1(VALU_DEP_1)
	v_div_scale_f32 v5, null, v3, v3, v4
	v_rcp_f32_e32 v6, v5
	v_nop
	s_delay_alu instid0(TRANS32_DEP_1) | instskip(NEXT) | instid1(VALU_DEP_1)
	v_fma_f32 v9, -v5, v6, 1.0
	v_fmac_f32_e32 v6, v9, v6
	v_div_scale_f32 v9, vcc_lo, v4, v3, v4
	s_delay_alu instid0(VALU_DEP_1) | instskip(NEXT) | instid1(VALU_DEP_1)
	v_mul_f32_e32 v10, v9, v6
	v_fma_f32 v11, -v5, v10, v9
	s_delay_alu instid0(VALU_DEP_1) | instskip(NEXT) | instid1(VALU_DEP_1)
	v_fmac_f32_e32 v10, v11, v6
	v_fma_f32 v5, -v5, v10, v9
	s_delay_alu instid0(VALU_DEP_1) | instskip(NEXT) | instid1(VALU_DEP_1)
	v_div_fmas_f32 v5, v5, v6, v10
	v_div_fixup_f32 v5, v5, v3, v4
	s_delay_alu instid0(VALU_DEP_1) | instskip(NEXT) | instid1(VALU_DEP_1)
	v_fmac_f32_e32 v5, 0.5, v3
	v_mul_f32_e32 v4, 0x3f3504f3, v5
	s_delay_alu instid0(VALU_DEP_1) | instskip(SKIP_1) | instid1(SALU_CYCLE_1)
	v_cmp_ngt_f32_e64 s0, 0x3f580000, |v4|
	s_and_saveexec_b32 s1, s0
	s_xor_b32 s0, exec_lo, s1
	s_cbranch_execz .LBB0_23
; %bb.2:
	v_cmp_ngt_f32_e64 s1, 0x3fa00000, |v4|
	s_and_saveexec_b32 s4, s1
	s_delay_alu instid0(SALU_CYCLE_1)
	s_xor_b32 s1, exec_lo, s4
	s_cbranch_execz .LBB0_16
; %bb.3:
	v_cmp_le_f32_e64 s4, 0x40c00000, |v4|
	s_and_saveexec_b32 s5, s4
	s_delay_alu instid0(SALU_CYCLE_1)
	s_xor_b32 s4, exec_lo, s5
; %bb.4:
	v_cmp_nle_f32_e32 vcc_lo, 0, v4
	v_cndmask_b32_e64 v4, 1.0, -1.0, vcc_lo
; %bb.5:
	s_and_not1_saveexec_b32 s4, s4
	s_cbranch_execz .LBB0_15
; %bb.6:
	s_delay_alu instid0(VALU_DEP_1) | instskip(SKIP_1) | instid1(VALU_DEP_2)
	v_mul_f32_e32 v9, v4, v4
	v_cmp_ngt_f32_e64 s5, 0x4036db6e, |v4|
	v_div_scale_f32 v6, null, v9, v9, 1.0
	s_delay_alu instid0(VALU_DEP_1) | instskip(SKIP_1) | instid1(TRANS32_DEP_1)
	v_rcp_f32_e32 v10, v6
	v_nop
	v_fma_f32 v11, -v6, v10, 1.0
	s_delay_alu instid0(VALU_DEP_1) | instskip(SKIP_1) | instid1(VALU_DEP_1)
	v_fmac_f32_e32 v10, v11, v10
	v_div_scale_f32 v12, vcc_lo, 1.0, v9, 1.0
	v_mul_f32_e32 v11, v12, v10
	s_delay_alu instid0(VALU_DEP_1) | instskip(NEXT) | instid1(VALU_DEP_1)
	v_fma_f32 v13, -v6, v11, v12
	v_fmac_f32_e32 v11, v13, v10
	s_delay_alu instid0(VALU_DEP_1) | instskip(NEXT) | instid1(VALU_DEP_1)
	v_fma_f32 v6, -v6, v11, v12
	v_div_fmas_f32 v6, v6, v10, v11
                                        ; implicit-def: $vgpr11
	s_delay_alu instid0(VALU_DEP_1) | instskip(SKIP_1) | instid1(SALU_CYCLE_1)
	v_div_fixup_f32 v6, v6, v9, 1.0
	s_and_saveexec_b32 s6, s5
	s_xor_b32 s5, exec_lo, s6
	s_cbranch_execz .LBB0_8
; %bb.7:
	s_mov_b32 s6, 0xc3f1c275
	v_mov_b32_e32 v11, 0x41b38712
	v_fmaak_f32 v10, s6, v6, 0xc480230b
	v_mov_b32_e32 v13, 0x43ed43a7
	s_delay_alu instid0(VALU_DEP_2) | instskip(NEXT) | instid1(VALU_DEP_1)
	v_fmaak_f32 v10, v6, v10, 0xc41f6441
	v_fmaak_f32 v10, v6, v10, 0xc320a2ea
	s_delay_alu instid0(VALU_DEP_1) | instskip(NEXT) | instid1(VALU_DEP_1)
	v_fmaak_f32 v10, v6, v10, 0xc18e104b
	v_fmaak_f32 v10, v6, v10, 0xbf4c9dd4
	s_delay_alu instid0(VALU_DEP_1) | instskip(SKIP_1) | instid1(VALU_DEP_2)
	v_pk_mul_f32 v[14:15], v[6:7], v[10:11] op_sel_hi:[0,1]
	v_pk_fma_f32 v[10:11], v[6:7], v[10:11], v[12:13] op_sel_hi:[0,1,1] neg_lo:[1,0,0] neg_hi:[1,0,0]
	v_add_f32_e32 v10, 0xbc21a092, v14
.LBB0_8:
	s_or_saveexec_b32 s5, s5
	v_mov_b32_e32 v12, 0x41f2b459
	v_mov_b32_e32 v13, 0x43a2e571
	;; [unrolled: 1-line block ×5, first 2 shown]
	s_xor_b32 exec_lo, exec_lo, s5
	s_cbranch_execz .LBB0_10
; %bb.9:
	s_mov_b32 s6, 0xc11d077e
	v_mov_b32_e32 v11, 0x3d777f97
	v_fmaak_f32 v10, s6, v6, 0xc2a2932b
	v_mov_b32_e32 v13, 0x40d23f7c
	v_mov_b32_e32 v12, 0xbf31a0b7
	v_mov_b64_e32 v[16:17], 0x42d9451fbc21a093
	s_delay_alu instid0(VALU_DEP_4) | instskip(NEXT) | instid1(VALU_DEP_1)
	v_fmaak_f32 v10, v6, v10, 0xc3389ae7
	v_fmaak_f32 v10, v6, v10, 0xc322658c
	s_delay_alu instid0(VALU_DEP_1) | instskip(NEXT) | instid1(VALU_DEP_1)
	v_fmaak_f32 v10, v6, v10, 0xc2798057
	v_fmaak_f32 v10, v6, v10, 0xc128f022
	s_delay_alu instid0(VALU_DEP_1) | instskip(SKIP_3) | instid1(VALU_DEP_4)
	v_pk_fma_f32 v[14:15], v[6:7], v[10:11], v[12:13] op_sel_hi:[0,1,1] neg_lo:[1,0,0] neg_hi:[1,0,0]
	v_pk_fma_f32 v[10:11], v[6:7], v[10:11], v[12:13]
	v_mov_b32_e32 v12, 0x419d35ce
	v_mov_b32_e32 v13, 0x4309a863
	v_dual_mov_b32 v14, 0x43d9486f :: v_dual_mov_b32 v11, v15
	v_mov_b32_e32 v15, 0x442158c9
	s_delay_alu instid0(VALU_DEP_2)
	v_pk_fma_f32 v[10:11], v[6:7], v[10:11], v[16:17] op_sel_hi:[0,1,1]
	v_mov_b32_e32 v16, 0x43d6810b
.LBB0_10:
	s_or_b32 exec_lo, exec_lo, s5
	s_delay_alu instid0(VALU_DEP_1) | instskip(NEXT) | instid1(VALU_DEP_1)
	v_dual_fmac_f32 v16, v6, v11 :: v_dual_sub_f32 v9, 0xbf100000, v9
	v_fmac_f32_e32 v15, v6, v16
	s_delay_alu instid0(VALU_DEP_1) | instskip(NEXT) | instid1(VALU_DEP_1)
	v_fmac_f32_e32 v14, v6, v15
	v_fmac_f32_e32 v13, v6, v14
	s_delay_alu instid0(VALU_DEP_1) | instskip(NEXT) | instid1(VALU_DEP_1)
	v_fmac_f32_e32 v12, v6, v13
	v_fma_f32 v6, v6, v12, 1.0
	s_delay_alu instid0(VALU_DEP_1) | instskip(SKIP_1) | instid1(VALU_DEP_2)
	v_div_scale_f32 v11, null, v6, v6, v10
	v_div_scale_f32 v14, vcc_lo, v10, v6, v10
	v_rcp_f32_e32 v12, v11
	v_nop
	s_delay_alu instid0(TRANS32_DEP_1) | instskip(NEXT) | instid1(VALU_DEP_1)
	v_fma_f32 v13, -v11, v12, 1.0
	v_fmac_f32_e32 v12, v13, v12
	s_delay_alu instid0(VALU_DEP_1) | instskip(NEXT) | instid1(VALU_DEP_1)
	v_mul_f32_e32 v13, v14, v12
	v_fma_f32 v15, -v11, v13, v14
	s_delay_alu instid0(VALU_DEP_1) | instskip(NEXT) | instid1(VALU_DEP_1)
	v_fmac_f32_e32 v13, v15, v12
	v_fma_f32 v11, -v11, v13, v14
	s_delay_alu instid0(VALU_DEP_1) | instskip(NEXT) | instid1(VALU_DEP_1)
	v_div_fmas_f32 v11, v11, v12, v13
	v_div_fixup_f32 v6, v11, v6, v10
	s_delay_alu instid0(VALU_DEP_1) | instskip(NEXT) | instid1(VALU_DEP_1)
	v_add_f32_e32 v6, v9, v6
	v_mul_f32_e32 v9, 0x3fb8aa3b, v6
	v_cmp_ngt_f32_e32 vcc_lo, 0xc2ce8ed0, v6
	s_delay_alu instid0(VALU_DEP_2) | instskip(SKIP_1) | instid1(VALU_DEP_1)
	v_fma_f32 v10, 0x3fb8aa3b, v6, -v9
	v_rndne_f32_e32 v11, v9
	v_dual_fmamk_f32 v10, v6, 0x32a5705f, v10 :: v_dual_sub_f32 v9, v9, v11
	s_delay_alu instid0(VALU_DEP_1) | instskip(SKIP_1) | instid1(VALU_DEP_2)
	v_add_f32_e32 v9, v9, v10
	v_cvt_i32_f32_e32 v10, v11
	v_exp_f32_e32 v9, v9
	v_nop
	s_delay_alu instid0(TRANS32_DEP_1) | instskip(SKIP_1) | instid1(VALU_DEP_2)
	v_ldexp_f32 v9, v9, v10
	v_and_b32_e32 v10, 0x7fffffff, v4
	v_cndmask_b32_e32 v9, 0, v9, vcc_lo
	v_cmp_nlt_f32_e32 vcc_lo, 0x42b17218, v6
	s_delay_alu instid0(VALU_DEP_2) | instskip(NEXT) | instid1(VALU_DEP_1)
	v_cndmask_b32_e32 v6, 0x7f800000, v9, vcc_lo
	v_div_scale_f32 v9, null, v10, v10, v6
	v_div_scale_f32 v10, vcc_lo, v6, v10, v6
	s_delay_alu instid0(VALU_DEP_2) | instskip(SKIP_1) | instid1(TRANS32_DEP_1)
	v_rcp_f32_e32 v11, v9
	v_nop
	v_fma_f32 v12, -v9, v11, 1.0
	s_delay_alu instid0(VALU_DEP_1) | instskip(NEXT) | instid1(VALU_DEP_1)
	v_fmac_f32_e32 v11, v12, v11
	v_mul_f32_e32 v12, v10, v11
	s_delay_alu instid0(VALU_DEP_1) | instskip(NEXT) | instid1(VALU_DEP_1)
	v_fma_f32 v13, -v9, v12, v10
	v_fmac_f32_e32 v12, v13, v11
	s_delay_alu instid0(VALU_DEP_1) | instskip(NEXT) | instid1(VALU_DEP_1)
	v_fma_f32 v9, -v9, v12, v10
	v_div_fmas_f32 v9, v9, v11, v12
	v_cmp_le_f32_e32 vcc_lo, 0, v4
	s_delay_alu instid0(VALU_DEP_2) | instskip(SKIP_1) | instid1(SALU_CYCLE_1)
	v_div_fixup_f32 v6, v9, |v4|, v6
                                        ; implicit-def: $vgpr4
	s_and_saveexec_b32 s5, vcc_lo
	s_xor_b32 s5, exec_lo, s5
; %bb.11:
	s_delay_alu instid0(VALU_DEP_1)
	v_sub_f32_e32 v4, 1.0, v6
                                        ; implicit-def: $vgpr6
; %bb.12:
	s_and_not1_saveexec_b32 s5, s5
; %bb.13:
	v_add_f32_e32 v4, -1.0, v6
; %bb.14:
	s_or_b32 exec_lo, exec_lo, s5
.LBB0_15:
	s_delay_alu instid0(SALU_CYCLE_1)
	s_or_b32 exec_lo, exec_lo, s4
.LBB0_16:
	s_and_not1_saveexec_b32 s1, s1
	s_cbranch_execz .LBB0_22
; %bb.17:
	v_add_f32_e64 v6, |v4|, -1.0
	s_mov_b32 s4, 0xbb0df9c0
	s_mov_b32 s5, 0x3c445aa3
	s_delay_alu instid0(VALU_DEP_1) | instskip(SKIP_1) | instid1(VALU_DEP_2)
	v_fmaak_f32 v9, s4, v6, 0x3d1151b3
	v_fmaak_f32 v10, s5, v6, 0x3c5f6e13
	;; [unrolled: 1-line block ×3, first 2 shown]
	s_delay_alu instid0(VALU_DEP_2) | instskip(NEXT) | instid1(VALU_DEP_2)
	v_fmaak_f32 v10, v6, v10, 0x3e013307
	v_fmaak_f32 v9, v6, v9, 0x3ea2fe54
	s_delay_alu instid0(VALU_DEP_2) | instskip(NEXT) | instid1(VALU_DEP_2)
	v_fmaak_f32 v10, v6, v10, 0x3d931ae7
	v_fmaak_f32 v9, v6, v9, 0xbebe9208
	;; [unrolled: 3-line block ×4, first 2 shown]
	s_delay_alu instid0(VALU_DEP_2) | instskip(NEXT) | instid1(VALU_DEP_1)
	v_fma_f32 v6, v6, v10, 1.0
	v_div_scale_f32 v10, null, v6, v6, v9
	s_delay_alu instid0(VALU_DEP_1) | instskip(SKIP_1) | instid1(TRANS32_DEP_1)
	v_rcp_f32_e32 v11, v10
	v_nop
	v_fma_f32 v12, -v10, v11, 1.0
	s_delay_alu instid0(VALU_DEP_1) | instskip(SKIP_1) | instid1(VALU_DEP_1)
	v_fmac_f32_e32 v11, v12, v11
	v_div_scale_f32 v12, vcc_lo, v9, v6, v9
	v_mul_f32_e32 v13, v12, v11
	s_delay_alu instid0(VALU_DEP_1) | instskip(NEXT) | instid1(VALU_DEP_1)
	v_fma_f32 v14, -v10, v13, v12
	v_fmac_f32_e32 v13, v14, v11
	s_delay_alu instid0(VALU_DEP_1) | instskip(NEXT) | instid1(VALU_DEP_1)
	v_fma_f32 v10, -v10, v13, v12
	v_div_fmas_f32 v10, v10, v11, v13
	v_cmp_le_f32_e32 vcc_lo, 0, v4
                                        ; implicit-def: $vgpr4
	s_delay_alu instid0(VALU_DEP_2) | instskip(SKIP_1) | instid1(SALU_CYCLE_1)
	v_div_fixup_f32 v6, v10, v6, v9
	s_and_saveexec_b32 s4, vcc_lo
	s_xor_b32 s4, exec_lo, s4
; %bb.18:
	s_delay_alu instid0(VALU_DEP_1)
	v_add_f32_e32 v4, 0x3f58560b, v6
                                        ; implicit-def: $vgpr6
; %bb.19:
	s_and_not1_saveexec_b32 s4, s4
; %bb.20:
	v_sub_f32_e32 v4, 0xbf58560b, v6
; %bb.21:
	s_or_b32 exec_lo, exec_lo, s4
.LBB0_22:
	s_delay_alu instid0(SALU_CYCLE_1)
	s_or_b32 exec_lo, exec_lo, s1
.LBB0_23:
	s_and_not1_saveexec_b32 s0, s0
	s_cbranch_execz .LBB0_33
; %bb.24:
	v_cmp_ngt_f32_e64 s1, 0x31800000, |v4|
	s_and_saveexec_b32 s4, s1
	s_delay_alu instid0(SALU_CYCLE_1)
	s_xor_b32 s1, exec_lo, s4
	s_cbranch_execz .LBB0_26
; %bb.25:
	v_dual_mul_f32 v6, v4, v4 :: v_dual_mov_b32 v9, 0x3ba68116
	s_mov_b32 s4, 0xb684e21a
	v_mov_b32_e32 v10, 0x37c756b1
	v_mov_b32_e32 v12, 0xbbbd1489
	s_delay_alu instid0(VALU_DEP_3) | instskip(SKIP_3) | instid1(VALU_DEP_3)
	v_fmaak_f32 v11, s4, v6, 0x390aee49
	s_mov_b32 s4, 0x37c756b1
	v_mov_b64_e32 v[16:17], 0x3d852a63bce9528f
	v_mov_b64_e32 v[14:15], s[4:5]
	v_pk_fma_f32 v[10:11], v[6:7], v[10:11], v[8:9] op_sel_hi:[0,1,1]
	s_delay_alu instid0(VALU_DEP_2) | instskip(NEXT) | instid1(VALU_DEP_2)
	v_pk_fma_f32 v[12:13], v[6:7], v[14:15], v[12:13] neg_lo:[1,0,0] neg_hi:[1,0,0]
	v_mov_b32_e32 v13, v11
	v_mov_b64_e32 v[10:11], 0x3ecbbbcebea66beb
	v_mov_b64_e32 v[14:15], 0x3f8000003e0375d4
	s_delay_alu instid0(VALU_DEP_3) | instskip(NEXT) | instid1(VALU_DEP_1)
	v_pk_fma_f32 v[12:13], v[6:7], v[12:13], v[16:17] op_sel_hi:[0,1,1]
	v_pk_fma_f32 v[10:11], v[6:7], v[12:13], v[10:11] op_sel_hi:[0,1,1]
	s_delay_alu instid0(VALU_DEP_1) | instskip(NEXT) | instid1(VALU_DEP_1)
	v_pk_fma_f32 v[10:11], v[6:7], v[10:11], v[14:15] op_sel_hi:[0,1,1]
	v_div_scale_f32 v6, null, v11, v11, v10
	s_delay_alu instid0(VALU_DEP_1) | instskip(SKIP_1) | instid1(TRANS32_DEP_1)
	v_rcp_f32_e32 v9, v6
	v_nop
	v_fma_f32 v12, -v6, v9, 1.0
	s_delay_alu instid0(VALU_DEP_1) | instskip(SKIP_1) | instid1(VALU_DEP_1)
	v_fmac_f32_e32 v9, v12, v9
	v_div_scale_f32 v12, vcc_lo, v10, v11, v10
	v_mul_f32_e32 v13, v12, v9
	s_delay_alu instid0(VALU_DEP_1) | instskip(NEXT) | instid1(VALU_DEP_1)
	v_fma_f32 v14, -v6, v13, v12
	v_fmac_f32_e32 v13, v14, v9
	s_delay_alu instid0(VALU_DEP_1) | instskip(NEXT) | instid1(VALU_DEP_1)
	v_fma_f32 v6, -v6, v13, v12
	v_div_fmas_f32 v6, v6, v9, v13
	s_delay_alu instid0(VALU_DEP_1) | instskip(NEXT) | instid1(VALU_DEP_1)
	v_div_fixup_f32 v6, v6, v11, v10
	v_fmac_f32_e32 v4, v4, v6
.LBB0_26:
	s_and_not1_saveexec_b32 s1, s1
	s_cbranch_execz .LBB0_32
; %bb.27:
	s_delay_alu instid0(VALU_DEP_1) | instskip(SKIP_1) | instid1(SALU_CYCLE_1)
	v_cmp_ngt_f32_e64 s4, 0x2800000, |v4|
	s_and_saveexec_b32 s5, s4
	s_xor_b32 s4, exec_lo, s5
; %bb.28:
	v_fmamk_f32 v4, v4, 0x3e0375d4, v4
; %bb.29:
	s_and_not1_saveexec_b32 s4, s4
; %bb.30:
	v_mov_b64_e32 v[10:11], 0x3f8375d441000000
	s_delay_alu instid0(VALU_DEP_1) | instskip(NEXT) | instid1(VALU_DEP_1)
	v_pk_mul_f32 v[10:11], v[4:5], v[10:11] op_sel_hi:[0,1]
	v_add_f32_e32 v4, v10, v11
	s_delay_alu instid0(VALU_DEP_1)
	v_mul_f32_e32 v4, 0x3e000000, v4
; %bb.31:
	s_or_b32 exec_lo, exec_lo, s4
.LBB0_32:
	s_delay_alu instid0(SALU_CYCLE_1)
	s_or_b32 exec_lo, exec_lo, s1
.LBB0_33:
	s_delay_alu instid0(SALU_CYCLE_1) | instskip(SKIP_1) | instid1(VALU_DEP_1)
	s_or_b32 exec_lo, exec_lo, s0
	v_sub_f32_e32 v3, v5, v3
	v_mul_f32_e32 v6, 0x3f3504f3, v3
	s_delay_alu instid0(VALU_DEP_1) | instskip(SKIP_1) | instid1(SALU_CYCLE_1)
	v_cmp_ngt_f32_e64 s0, 0x3f580000, |v6|
	s_and_saveexec_b32 s1, s0
	s_xor_b32 s0, exec_lo, s1
	s_cbranch_execz .LBB0_55
; %bb.34:
	v_cmp_ngt_f32_e64 s1, 0x3fa00000, |v6|
	s_and_saveexec_b32 s4, s1
	s_delay_alu instid0(SALU_CYCLE_1)
	s_xor_b32 s1, exec_lo, s4
	s_cbranch_execz .LBB0_48
; %bb.35:
	v_cmp_le_f32_e64 s4, 0x40c00000, |v6|
	s_and_saveexec_b32 s5, s4
	s_delay_alu instid0(SALU_CYCLE_1)
	s_xor_b32 s4, exec_lo, s5
; %bb.36:
	v_cmp_nle_f32_e32 vcc_lo, 0, v6
	v_cndmask_b32_e64 v6, 1.0, -1.0, vcc_lo
; %bb.37:
	s_and_not1_saveexec_b32 s4, s4
	s_cbranch_execz .LBB0_47
; %bb.38:
	s_delay_alu instid0(VALU_DEP_1) | instskip(SKIP_1) | instid1(VALU_DEP_2)
	v_mul_f32_e32 v3, v6, v6
	v_cmp_ngt_f32_e64 s5, 0x4036db6e, |v6|
	v_div_scale_f32 v5, null, v3, v3, 1.0
	v_div_scale_f32 v11, vcc_lo, 1.0, v3, 1.0
	s_delay_alu instid0(VALU_DEP_2) | instskip(SKIP_1) | instid1(TRANS32_DEP_1)
	v_rcp_f32_e32 v9, v5
	v_nop
	v_fma_f32 v10, -v5, v9, 1.0
	s_delay_alu instid0(VALU_DEP_1) | instskip(NEXT) | instid1(VALU_DEP_1)
	v_fmac_f32_e32 v9, v10, v9
	v_mul_f32_e32 v10, v11, v9
	s_delay_alu instid0(VALU_DEP_1) | instskip(NEXT) | instid1(VALU_DEP_1)
	v_fma_f32 v12, -v5, v10, v11
	v_fmac_f32_e32 v10, v12, v9
                                        ; implicit-def: $vgpr13
	s_delay_alu instid0(VALU_DEP_1) | instskip(NEXT) | instid1(VALU_DEP_1)
	v_fma_f32 v5, -v5, v10, v11
	v_div_fmas_f32 v5, v5, v9, v10
	s_delay_alu instid0(VALU_DEP_1) | instskip(SKIP_1) | instid1(SALU_CYCLE_1)
	v_div_fixup_f32 v10, v5, v3, 1.0
	s_and_saveexec_b32 s6, s5
	s_xor_b32 s5, exec_lo, s6
	s_cbranch_execz .LBB0_40
; %bb.39:
	s_mov_b32 s6, 0xc3f1c275
	v_mov_b32_e32 v13, 0x41b38712
	v_fmaak_f32 v5, s6, v10, 0xc480230b
	s_delay_alu instid0(VALU_DEP_1) | instskip(NEXT) | instid1(VALU_DEP_1)
	v_fmaak_f32 v5, v10, v5, 0xc41f6441
	v_fmaak_f32 v5, v10, v5, 0xc320a2ea
	s_delay_alu instid0(VALU_DEP_1) | instskip(NEXT) | instid1(VALU_DEP_1)
	v_fmaak_f32 v5, v10, v5, 0xc18e104b
	v_fmaak_f32 v12, v10, v5, 0xbf4c9dd4
	v_mov_b32_e32 v5, 0x43ed43a7
	s_delay_alu instid0(VALU_DEP_2) | instskip(NEXT) | instid1(VALU_DEP_2)
	v_pk_mul_f32 v[14:15], v[10:11], v[12:13] op_sel_hi:[0,1]
	v_pk_fma_f32 v[12:13], v[10:11], v[12:13], v[4:5] op_sel_hi:[0,1,1] neg_lo:[1,0,0] neg_hi:[1,0,0]
	s_delay_alu instid0(VALU_DEP_2)
	v_add_f32_e32 v12, 0xbc21a092, v14
.LBB0_40:
	s_or_saveexec_b32 s5, s5
	v_mov_b32_e32 v5, 0x41f2b459
	v_mov_b32_e32 v9, 0x43a2e571
	;; [unrolled: 1-line block ×5, first 2 shown]
	s_xor_b32 exec_lo, exec_lo, s5
	s_cbranch_execz .LBB0_42
; %bb.41:
	s_mov_b32 s6, 0xc11d077e
	v_mov_b32_e32 v13, 0x3d777f97
	v_fmaak_f32 v5, s6, v10, 0xc2a2932b
	v_mov_b32_e32 v14, 0xbf31a0b7
	v_mov_b64_e32 v[18:19], 0x42d9451fbc21a093
	s_delay_alu instid0(VALU_DEP_3) | instskip(NEXT) | instid1(VALU_DEP_1)
	v_fmaak_f32 v5, v10, v5, 0xc3389ae7
	v_fmaak_f32 v5, v10, v5, 0xc322658c
	s_delay_alu instid0(VALU_DEP_1) | instskip(SKIP_1) | instid1(VALU_DEP_2)
	v_fmaak_f32 v9, v10, v5, 0xc2798057
	v_mov_b32_e32 v5, 0x40d23f7c
	v_fmaak_f32 v12, v10, v9, 0xc128f022
	v_mov_b32_e32 v9, 0x4309a863
	s_delay_alu instid0(VALU_DEP_2) | instskip(SKIP_3) | instid1(VALU_DEP_4)
	v_pk_fma_f32 v[16:17], v[10:11], v[12:13], v[4:5] op_sel_hi:[0,1,1] neg_lo:[1,0,0] neg_hi:[1,0,0]
	v_pk_fma_f32 v[12:13], v[10:11], v[12:13], v[14:15]
	v_mov_b32_e32 v11, 0x43d9486f
	v_mov_b32_e32 v5, 0x419d35ce
	v_dual_mov_b32 v14, 0x442158c9 :: v_dual_mov_b32 v13, v17
	v_mov_b32_e32 v15, 0x43d6810b
	s_delay_alu instid0(VALU_DEP_2)
	v_pk_fma_f32 v[12:13], v[10:11], v[12:13], v[18:19] op_sel_hi:[0,1,1]
.LBB0_42:
	s_or_b32 exec_lo, exec_lo, s5
	s_delay_alu instid0(VALU_DEP_1) | instskip(SKIP_1) | instid1(VALU_DEP_2)
	v_fmac_f32_e32 v15, v10, v13
	v_sub_f32_e32 v3, 0xbf100000, v3
	v_fmac_f32_e32 v14, v10, v15
	s_delay_alu instid0(VALU_DEP_1) | instskip(NEXT) | instid1(VALU_DEP_1)
	v_fmac_f32_e32 v11, v10, v14
	v_fmac_f32_e32 v9, v10, v11
	s_delay_alu instid0(VALU_DEP_1) | instskip(NEXT) | instid1(VALU_DEP_1)
	v_fmac_f32_e32 v5, v10, v9
	v_fma_f32 v5, v10, v5, 1.0
	s_delay_alu instid0(VALU_DEP_1) | instskip(SKIP_1) | instid1(VALU_DEP_2)
	v_div_scale_f32 v9, null, v5, v5, v12
	v_div_scale_f32 v13, vcc_lo, v12, v5, v12
	v_rcp_f32_e32 v10, v9
	v_nop
	s_delay_alu instid0(TRANS32_DEP_1) | instskip(NEXT) | instid1(VALU_DEP_1)
	v_fma_f32 v11, -v9, v10, 1.0
	v_fmac_f32_e32 v10, v11, v10
	s_delay_alu instid0(VALU_DEP_1) | instskip(NEXT) | instid1(VALU_DEP_1)
	v_mul_f32_e32 v11, v13, v10
	v_fma_f32 v14, -v9, v11, v13
	s_delay_alu instid0(VALU_DEP_1) | instskip(NEXT) | instid1(VALU_DEP_1)
	v_fmac_f32_e32 v11, v14, v10
	v_fma_f32 v9, -v9, v11, v13
	s_delay_alu instid0(VALU_DEP_1) | instskip(NEXT) | instid1(VALU_DEP_1)
	v_div_fmas_f32 v9, v9, v10, v11
	v_div_fixup_f32 v5, v9, v5, v12
	s_delay_alu instid0(VALU_DEP_1) | instskip(NEXT) | instid1(VALU_DEP_1)
	v_add_f32_e32 v3, v3, v5
	v_mul_f32_e32 v5, 0x3fb8aa3b, v3
	v_cmp_ngt_f32_e32 vcc_lo, 0xc2ce8ed0, v3
	s_delay_alu instid0(VALU_DEP_2) | instskip(SKIP_1) | instid1(VALU_DEP_2)
	v_fma_f32 v9, 0x3fb8aa3b, v3, -v5
	v_rndne_f32_e32 v10, v5
	v_fmamk_f32 v9, v3, 0x32a5705f, v9
	s_delay_alu instid0(VALU_DEP_2) | instskip(NEXT) | instid1(VALU_DEP_1)
	v_sub_f32_e32 v5, v5, v10
	v_add_f32_e32 v5, v5, v9
	v_cvt_i32_f32_e32 v9, v10
	s_delay_alu instid0(VALU_DEP_2) | instskip(SKIP_1) | instid1(TRANS32_DEP_1)
	v_exp_f32_e32 v5, v5
	v_nop
	v_ldexp_f32 v5, v5, v9
	v_and_b32_e32 v9, 0x7fffffff, v6
	s_delay_alu instid0(VALU_DEP_2) | instskip(SKIP_1) | instid1(VALU_DEP_2)
	v_cndmask_b32_e32 v5, 0, v5, vcc_lo
	v_cmp_nlt_f32_e32 vcc_lo, 0x42b17218, v3
	v_cndmask_b32_e32 v3, 0x7f800000, v5, vcc_lo
	s_delay_alu instid0(VALU_DEP_1) | instskip(SKIP_1) | instid1(VALU_DEP_2)
	v_div_scale_f32 v5, null, v9, v9, v3
	v_div_scale_f32 v9, vcc_lo, v3, v9, v3
	v_rcp_f32_e32 v10, v5
	v_nop
	s_delay_alu instid0(TRANS32_DEP_1) | instskip(NEXT) | instid1(VALU_DEP_1)
	v_fma_f32 v11, -v5, v10, 1.0
	v_fmac_f32_e32 v10, v11, v10
	s_delay_alu instid0(VALU_DEP_1) | instskip(NEXT) | instid1(VALU_DEP_1)
	v_mul_f32_e32 v11, v9, v10
	v_fma_f32 v12, -v5, v11, v9
	s_delay_alu instid0(VALU_DEP_1) | instskip(NEXT) | instid1(VALU_DEP_1)
	v_fmac_f32_e32 v11, v12, v10
	v_fma_f32 v5, -v5, v11, v9
	s_delay_alu instid0(VALU_DEP_1) | instskip(SKIP_1) | instid1(VALU_DEP_2)
	v_div_fmas_f32 v5, v5, v10, v11
	v_cmp_le_f32_e32 vcc_lo, 0, v6
	v_div_fixup_f32 v3, v5, |v6|, v3
                                        ; implicit-def: $vgpr6
	s_and_saveexec_b32 s5, vcc_lo
	s_delay_alu instid0(SALU_CYCLE_1)
	s_xor_b32 s5, exec_lo, s5
; %bb.43:
	s_delay_alu instid0(VALU_DEP_1)
	v_sub_f32_e32 v6, 1.0, v3
                                        ; implicit-def: $vgpr3
; %bb.44:
	s_and_not1_saveexec_b32 s5, s5
; %bb.45:
	v_add_f32_e32 v6, -1.0, v3
; %bb.46:
	s_or_b32 exec_lo, exec_lo, s5
.LBB0_47:
	s_delay_alu instid0(SALU_CYCLE_1)
	s_or_b32 exec_lo, exec_lo, s4
.LBB0_48:
	s_and_not1_saveexec_b32 s1, s1
	s_cbranch_execz .LBB0_54
; %bb.49:
	v_add_f32_e64 v3, |v6|, -1.0
	s_mov_b32 s4, 0xbb0df9c0
	s_mov_b32 s5, 0x3c445aa3
	s_delay_alu instid0(VALU_DEP_1) | instskip(SKIP_1) | instid1(VALU_DEP_2)
	v_fmaak_f32 v5, s4, v3, 0x3d1151b3
	v_fmaak_f32 v9, s5, v3, 0x3c5f6e13
	;; [unrolled: 1-line block ×3, first 2 shown]
	s_delay_alu instid0(VALU_DEP_2) | instskip(NEXT) | instid1(VALU_DEP_2)
	v_fmaak_f32 v9, v3, v9, 0x3e013307
	v_fmaak_f32 v5, v3, v5, 0x3ea2fe54
	s_delay_alu instid0(VALU_DEP_2) | instskip(NEXT) | instid1(VALU_DEP_2)
	v_fmaak_f32 v9, v3, v9, 0x3d931ae7
	v_fmaak_f32 v5, v3, v5, 0xbebe9208
	;; [unrolled: 3-line block ×4, first 2 shown]
	s_delay_alu instid0(VALU_DEP_2) | instskip(NEXT) | instid1(VALU_DEP_1)
	v_fma_f32 v3, v3, v9, 1.0
	v_div_scale_f32 v9, null, v3, v3, v5
	s_delay_alu instid0(VALU_DEP_1) | instskip(SKIP_1) | instid1(TRANS32_DEP_1)
	v_rcp_f32_e32 v10, v9
	v_nop
	v_fma_f32 v11, -v9, v10, 1.0
	s_delay_alu instid0(VALU_DEP_1) | instskip(SKIP_1) | instid1(VALU_DEP_1)
	v_fmac_f32_e32 v10, v11, v10
	v_div_scale_f32 v11, vcc_lo, v5, v3, v5
	v_mul_f32_e32 v12, v11, v10
	s_delay_alu instid0(VALU_DEP_1) | instskip(NEXT) | instid1(VALU_DEP_1)
	v_fma_f32 v13, -v9, v12, v11
	v_fmac_f32_e32 v12, v13, v10
	s_delay_alu instid0(VALU_DEP_1) | instskip(NEXT) | instid1(VALU_DEP_1)
	v_fma_f32 v9, -v9, v12, v11
	v_div_fmas_f32 v9, v9, v10, v12
	v_cmp_le_f32_e32 vcc_lo, 0, v6
                                        ; implicit-def: $vgpr6
	s_delay_alu instid0(VALU_DEP_2) | instskip(SKIP_1) | instid1(SALU_CYCLE_1)
	v_div_fixup_f32 v3, v9, v3, v5
	s_and_saveexec_b32 s4, vcc_lo
	s_xor_b32 s4, exec_lo, s4
; %bb.50:
	s_delay_alu instid0(VALU_DEP_1)
	v_add_f32_e32 v6, 0x3f58560b, v3
                                        ; implicit-def: $vgpr3
; %bb.51:
	s_and_not1_saveexec_b32 s4, s4
; %bb.52:
	v_sub_f32_e32 v6, 0xbf58560b, v3
; %bb.53:
	s_or_b32 exec_lo, exec_lo, s4
.LBB0_54:
	s_delay_alu instid0(SALU_CYCLE_1)
	s_or_b32 exec_lo, exec_lo, s1
.LBB0_55:
	s_or_saveexec_b32 s0, s0
	v_ashrrev_i32_e32 v9, 31, v8
	s_xor_b32 exec_lo, exec_lo, s0
	s_cbranch_execz .LBB0_65
; %bb.56:
	v_cmp_ngt_f32_e64 s1, 0x31800000, |v6|
	s_and_saveexec_b32 s4, s1
	s_delay_alu instid0(SALU_CYCLE_1)
	s_xor_b32 s1, exec_lo, s4
	s_cbranch_execz .LBB0_58
; %bb.57:
	v_dual_mul_f32 v10, v6, v6 :: v_dual_mov_b32 v3, 0x3ba68116
	s_mov_b32 s4, 0xb684e21a
	v_mov_b32_e32 v12, 0x37c756b1
	v_mov_b32_e32 v14, 0xbbbd1489
	s_delay_alu instid0(VALU_DEP_3) | instskip(SKIP_3) | instid1(VALU_DEP_3)
	v_fmaak_f32 v13, s4, v10, 0x390aee49
	s_mov_b32 s4, 0x37c756b1
	v_mov_b64_e32 v[18:19], 0x3d852a63bce9528f
	v_mov_b64_e32 v[16:17], s[4:5]
	v_pk_fma_f32 v[12:13], v[10:11], v[12:13], v[2:3] op_sel_hi:[0,1,1]
	s_delay_alu instid0(VALU_DEP_2) | instskip(NEXT) | instid1(VALU_DEP_2)
	v_pk_fma_f32 v[14:15], v[10:11], v[16:17], v[14:15] neg_lo:[1,0,0] neg_hi:[1,0,0]
	v_mov_b32_e32 v15, v13
	v_mov_b64_e32 v[12:13], 0x3ecbbbcebea66beb
	v_mov_b64_e32 v[16:17], 0x3f8000003e0375d4
	s_delay_alu instid0(VALU_DEP_3) | instskip(NEXT) | instid1(VALU_DEP_1)
	v_pk_fma_f32 v[14:15], v[10:11], v[14:15], v[18:19] op_sel_hi:[0,1,1]
	v_pk_fma_f32 v[12:13], v[10:11], v[14:15], v[12:13] op_sel_hi:[0,1,1]
	s_delay_alu instid0(VALU_DEP_1) | instskip(NEXT) | instid1(VALU_DEP_1)
	v_pk_fma_f32 v[10:11], v[10:11], v[12:13], v[16:17] op_sel_hi:[0,1,1]
	v_div_scale_f32 v3, null, v11, v11, v10
	s_delay_alu instid0(VALU_DEP_1) | instskip(SKIP_1) | instid1(TRANS32_DEP_1)
	v_rcp_f32_e32 v5, v3
	v_nop
	v_fma_f32 v12, -v3, v5, 1.0
	s_delay_alu instid0(VALU_DEP_1) | instskip(SKIP_1) | instid1(VALU_DEP_1)
	v_fmac_f32_e32 v5, v12, v5
	v_div_scale_f32 v12, vcc_lo, v10, v11, v10
	v_mul_f32_e32 v13, v12, v5
	s_delay_alu instid0(VALU_DEP_1) | instskip(NEXT) | instid1(VALU_DEP_1)
	v_fma_f32 v14, -v3, v13, v12
	v_fmac_f32_e32 v13, v14, v5
	s_delay_alu instid0(VALU_DEP_1) | instskip(NEXT) | instid1(VALU_DEP_1)
	v_fma_f32 v3, -v3, v13, v12
	v_div_fmas_f32 v3, v3, v5, v13
	s_delay_alu instid0(VALU_DEP_1) | instskip(NEXT) | instid1(VALU_DEP_1)
	v_div_fixup_f32 v3, v3, v11, v10
	v_fmac_f32_e32 v6, v6, v3
.LBB0_58:
	s_and_not1_saveexec_b32 s1, s1
	s_cbranch_execz .LBB0_64
; %bb.59:
	s_delay_alu instid0(VALU_DEP_1) | instskip(SKIP_1) | instid1(SALU_CYCLE_1)
	v_cmp_ngt_f32_e64 s4, 0x2800000, |v6|
	s_and_saveexec_b32 s5, s4
	s_xor_b32 s4, exec_lo, s5
; %bb.60:
	v_fmamk_f32 v6, v6, 0x3e0375d4, v6
; %bb.61:
	s_and_not1_saveexec_b32 s4, s4
; %bb.62:
	v_mov_b64_e32 v[10:11], 0x3f8375d441000000
	s_delay_alu instid0(VALU_DEP_1) | instskip(NEXT) | instid1(VALU_DEP_1)
	v_pk_mul_f32 v[10:11], v[6:7], v[10:11] op_sel_hi:[0,1]
	v_add_f32_e32 v3, v10, v11
	s_delay_alu instid0(VALU_DEP_1)
	v_mul_f32_e32 v6, 0x3e000000, v3
; %bb.63:
	s_or_b32 exec_lo, exec_lo, s4
.LBB0_64:
	s_delay_alu instid0(SALU_CYCLE_1)
	s_or_b32 exec_lo, exec_lo, s1
.LBB0_65:
	s_delay_alu instid0(SALU_CYCLE_1) | instskip(NEXT) | instid1(VALU_DEP_1)
	s_or_b32 exec_lo, exec_lo, s0
	v_dual_add_f32 v3, 1.0, v6 :: v_dual_add_f32 v4, 1.0, v4
	s_mov_b32 s0, exec_lo
	s_delay_alu instid0(VALU_DEP_1)
	v_dual_mul_f32 v5, 0.5, v3 :: v_dual_mul_f32 v4, 0.5, v4
	v_cmpx_lt_i32_e32 0, v0
	s_xor_b32 s0, exec_lo, s0
	s_cbranch_execz .LBB0_69
; %bb.66:
	s_mov_b32 s1, exec_lo
	v_cmpx_eq_u32_e32 1, v0
; %bb.67:
	v_mov_b32_e32 v3, 1.0
	s_delay_alu instid0(VALU_DEP_1) | instskip(NEXT) | instid1(VALU_DEP_1)
	v_pk_add_f32 v[10:11], v[4:5], v[2:3] neg_lo:[1,0] neg_hi:[1,0]
	v_dual_add_f32 v4, -1.0, v4 :: v_dual_mov_b32 v5, v11
; %bb.68:
	s_or_b32 exec_lo, exec_lo, s1
.LBB0_69:
	s_and_not1_saveexec_b32 s0, s0
	s_cbranch_execz .LBB0_73
; %bb.70:
	s_mov_b32 s1, exec_lo
	v_cmpx_eq_u32_e32 0, v0
; %bb.71:
	v_xor_b32_e32 v5, 0x80000000, v5
; %bb.72:
	s_or_b32 exec_lo, exec_lo, s1
.LBB0_73:
	s_delay_alu instid0(SALU_CYCLE_1) | instskip(SKIP_1) | instid1(VALU_DEP_1)
	s_or_b32 exec_lo, exec_lo, s0
	v_mov_b32_e32 v3, v1
	v_pk_mul_f32 v[0:1], v[2:3], v[4:5]
	s_delay_alu instid0(VALU_DEP_1) | instskip(NEXT) | instid1(VALU_DEP_1)
	v_add_f32_e32 v0, v0, v1
	v_mul_f32_e32 v2, v7, v0
	v_lshl_add_u64 v[0:1], v[8:9], 2, s[2:3]
	global_store_b32 v[0:1], v2, off
.LBB0_74:
	s_endpgm
	.section	.rodata,"a",@progbits
	.p2align	6, 0x0
	.amdhsa_kernel _Z15getOutValOptionPK17optionInputStructPfi
		.amdhsa_group_segment_fixed_size 0
		.amdhsa_private_segment_fixed_size 0
		.amdhsa_kernarg_size 280
		.amdhsa_user_sgpr_count 2
		.amdhsa_user_sgpr_dispatch_ptr 0
		.amdhsa_user_sgpr_queue_ptr 0
		.amdhsa_user_sgpr_kernarg_segment_ptr 1
		.amdhsa_user_sgpr_dispatch_id 0
		.amdhsa_user_sgpr_kernarg_preload_length 0
		.amdhsa_user_sgpr_kernarg_preload_offset 0
		.amdhsa_user_sgpr_private_segment_size 0
		.amdhsa_wavefront_size32 1
		.amdhsa_uses_dynamic_stack 0
		.amdhsa_enable_private_segment 0
		.amdhsa_system_sgpr_workgroup_id_x 1
		.amdhsa_system_sgpr_workgroup_id_y 0
		.amdhsa_system_sgpr_workgroup_id_z 0
		.amdhsa_system_sgpr_workgroup_info 0
		.amdhsa_system_vgpr_workitem_id 0
		.amdhsa_next_free_vgpr 20
		.amdhsa_next_free_sgpr 7
		.amdhsa_named_barrier_count 0
		.amdhsa_reserve_vcc 1
		.amdhsa_float_round_mode_32 0
		.amdhsa_float_round_mode_16_64 0
		.amdhsa_float_denorm_mode_32 3
		.amdhsa_float_denorm_mode_16_64 3
		.amdhsa_fp16_overflow 0
		.amdhsa_memory_ordered 1
		.amdhsa_forward_progress 1
		.amdhsa_inst_pref_size 36
		.amdhsa_round_robin_scheduling 0
		.amdhsa_exception_fp_ieee_invalid_op 0
		.amdhsa_exception_fp_denorm_src 0
		.amdhsa_exception_fp_ieee_div_zero 0
		.amdhsa_exception_fp_ieee_overflow 0
		.amdhsa_exception_fp_ieee_underflow 0
		.amdhsa_exception_fp_ieee_inexact 0
		.amdhsa_exception_int_div_zero 0
	.end_amdhsa_kernel
	.text
.Lfunc_end0:
	.size	_Z15getOutValOptionPK17optionInputStructPfi, .Lfunc_end0-_Z15getOutValOptionPK17optionInputStructPfi
                                        ; -- End function
	.set _Z15getOutValOptionPK17optionInputStructPfi.num_vgpr, 20
	.set _Z15getOutValOptionPK17optionInputStructPfi.num_agpr, 0
	.set _Z15getOutValOptionPK17optionInputStructPfi.numbered_sgpr, 7
	.set _Z15getOutValOptionPK17optionInputStructPfi.num_named_barrier, 0
	.set _Z15getOutValOptionPK17optionInputStructPfi.private_seg_size, 0
	.set _Z15getOutValOptionPK17optionInputStructPfi.uses_vcc, 1
	.set _Z15getOutValOptionPK17optionInputStructPfi.uses_flat_scratch, 0
	.set _Z15getOutValOptionPK17optionInputStructPfi.has_dyn_sized_stack, 0
	.set _Z15getOutValOptionPK17optionInputStructPfi.has_recursion, 0
	.set _Z15getOutValOptionPK17optionInputStructPfi.has_indirect_call, 0
	.section	.AMDGPU.csdata,"",@progbits
; Kernel info:
; codeLenInByte = 4572
; TotalNumSgprs: 9
; NumVgprs: 20
; ScratchSize: 0
; MemoryBound: 0
; FloatMode: 240
; IeeeMode: 1
; LDSByteSize: 0 bytes/workgroup (compile time only)
; SGPRBlocks: 0
; VGPRBlocks: 1
; NumSGPRsForWavesPerEU: 9
; NumVGPRsForWavesPerEU: 20
; NamedBarCnt: 0
; Occupancy: 16
; WaveLimiterHint : 0
; COMPUTE_PGM_RSRC2:SCRATCH_EN: 0
; COMPUTE_PGM_RSRC2:USER_SGPR: 2
; COMPUTE_PGM_RSRC2:TRAP_HANDLER: 0
; COMPUTE_PGM_RSRC2:TGID_X_EN: 1
; COMPUTE_PGM_RSRC2:TGID_Y_EN: 0
; COMPUTE_PGM_RSRC2:TGID_Z_EN: 0
; COMPUTE_PGM_RSRC2:TIDIG_COMP_CNT: 0
	.text
	.p2alignl 7, 3214868480
	.fill 96, 4, 3214868480
	.section	.AMDGPU.gpr_maximums,"",@progbits
	.set amdgpu.max_num_vgpr, 0
	.set amdgpu.max_num_agpr, 0
	.set amdgpu.max_num_sgpr, 0
	.text
	.type	__hip_cuid_4efcf6f6cafcabdf,@object ; @__hip_cuid_4efcf6f6cafcabdf
	.section	.bss,"aw",@nobits
	.globl	__hip_cuid_4efcf6f6cafcabdf
__hip_cuid_4efcf6f6cafcabdf:
	.byte	0                               ; 0x0
	.size	__hip_cuid_4efcf6f6cafcabdf, 1

	.ident	"AMD clang version 22.0.0git (https://github.com/RadeonOpenCompute/llvm-project roc-7.2.4 26084 f58b06dce1f9c15707c5f808fd002e18c2accf7e)"
	.section	".note.GNU-stack","",@progbits
	.addrsig
	.addrsig_sym __hip_cuid_4efcf6f6cafcabdf
	.amdgpu_metadata
---
amdhsa.kernels:
  - .args:
      - .address_space:  global
        .offset:         0
        .size:           8
        .value_kind:     global_buffer
      - .address_space:  global
        .offset:         8
        .size:           8
        .value_kind:     global_buffer
      - .offset:         16
        .size:           4
        .value_kind:     by_value
      - .offset:         24
        .size:           4
        .value_kind:     hidden_block_count_x
      - .offset:         28
        .size:           4
        .value_kind:     hidden_block_count_y
      - .offset:         32
        .size:           4
        .value_kind:     hidden_block_count_z
      - .offset:         36
        .size:           2
        .value_kind:     hidden_group_size_x
      - .offset:         38
        .size:           2
        .value_kind:     hidden_group_size_y
      - .offset:         40
        .size:           2
        .value_kind:     hidden_group_size_z
      - .offset:         42
        .size:           2
        .value_kind:     hidden_remainder_x
      - .offset:         44
        .size:           2
        .value_kind:     hidden_remainder_y
      - .offset:         46
        .size:           2
        .value_kind:     hidden_remainder_z
      - .offset:         64
        .size:           8
        .value_kind:     hidden_global_offset_x
      - .offset:         72
        .size:           8
        .value_kind:     hidden_global_offset_y
      - .offset:         80
        .size:           8
        .value_kind:     hidden_global_offset_z
      - .offset:         88
        .size:           2
        .value_kind:     hidden_grid_dims
    .group_segment_fixed_size: 0
    .kernarg_segment_align: 8
    .kernarg_segment_size: 280
    .language:       OpenCL C
    .language_version:
      - 2
      - 0
    .max_flat_workgroup_size: 1024
    .name:           _Z15getOutValOptionPK17optionInputStructPfi
    .private_segment_fixed_size: 0
    .sgpr_count:     9
    .sgpr_spill_count: 0
    .symbol:         _Z15getOutValOptionPK17optionInputStructPfi.kd
    .uniform_work_group_size: 1
    .uses_dynamic_stack: false
    .vgpr_count:     20
    .vgpr_spill_count: 0
    .wavefront_size: 32
amdhsa.target:   amdgcn-amd-amdhsa--gfx1250
amdhsa.version:
  - 1
  - 2
...

	.end_amdgpu_metadata
